;; amdgpu-corpus repo=ROCm/rocFFT kind=compiled arch=gfx1030 opt=O3
	.text
	.amdgcn_target "amdgcn-amd-amdhsa--gfx1030"
	.amdhsa_code_object_version 6
	.protected	fft_rtc_fwd_len910_factors_13_2_7_5_wgs_182_tpt_91_half_op_CI_CI_unitstride_sbrr_C2R_dirReg ; -- Begin function fft_rtc_fwd_len910_factors_13_2_7_5_wgs_182_tpt_91_half_op_CI_CI_unitstride_sbrr_C2R_dirReg
	.globl	fft_rtc_fwd_len910_factors_13_2_7_5_wgs_182_tpt_91_half_op_CI_CI_unitstride_sbrr_C2R_dirReg
	.p2align	8
	.type	fft_rtc_fwd_len910_factors_13_2_7_5_wgs_182_tpt_91_half_op_CI_CI_unitstride_sbrr_C2R_dirReg,@function
fft_rtc_fwd_len910_factors_13_2_7_5_wgs_182_tpt_91_half_op_CI_CI_unitstride_sbrr_C2R_dirReg: ; @fft_rtc_fwd_len910_factors_13_2_7_5_wgs_182_tpt_91_half_op_CI_CI_unitstride_sbrr_C2R_dirReg
; %bb.0:
	s_clause 0x2
	s_load_dwordx4 s[12:15], s[4:5], 0x0
	s_load_dwordx4 s[8:11], s[4:5], 0x58
	;; [unrolled: 1-line block ×3, first 2 shown]
	v_mul_u32_u24_e32 v1, 0x2d1, v0
	v_mov_b32_e32 v8, 0
	v_mov_b32_e32 v6, 0
	;; [unrolled: 1-line block ×3, first 2 shown]
	v_lshrrev_b32_e32 v5, 16, v1
	v_mov_b32_e32 v11, v8
	v_lshl_add_u32 v10, s6, 1, v5
	s_waitcnt lgkmcnt(0)
	v_cmp_lt_u64_e64 s0, s[14:15], 2
	s_and_b32 vcc_lo, exec_lo, s0
	s_cbranch_vccnz .LBB0_8
; %bb.1:
	s_load_dwordx2 s[0:1], s[4:5], 0x10
	v_mov_b32_e32 v6, 0
	v_mov_b32_e32 v7, 0
	s_add_u32 s2, s18, 8
	s_addc_u32 s3, s19, 0
	v_mov_b32_e32 v1, v6
	s_add_u32 s6, s16, 8
	v_mov_b32_e32 v2, v7
	s_addc_u32 s7, s17, 0
	s_mov_b64 s[22:23], 1
	s_waitcnt lgkmcnt(0)
	s_add_u32 s20, s0, 8
	s_addc_u32 s21, s1, 0
.LBB0_2:                                ; =>This Inner Loop Header: Depth=1
	s_load_dwordx2 s[24:25], s[20:21], 0x0
                                        ; implicit-def: $vgpr3_vgpr4
	s_mov_b32 s0, exec_lo
	s_waitcnt lgkmcnt(0)
	v_or_b32_e32 v9, s25, v11
	v_cmpx_ne_u64_e32 0, v[8:9]
	s_xor_b32 s1, exec_lo, s0
	s_cbranch_execz .LBB0_4
; %bb.3:                                ;   in Loop: Header=BB0_2 Depth=1
	v_cvt_f32_u32_e32 v3, s24
	v_cvt_f32_u32_e32 v4, s25
	s_sub_u32 s0, 0, s24
	s_subb_u32 s26, 0, s25
	v_fmac_f32_e32 v3, 0x4f800000, v4
	v_rcp_f32_e32 v3, v3
	v_mul_f32_e32 v3, 0x5f7ffffc, v3
	v_mul_f32_e32 v4, 0x2f800000, v3
	v_trunc_f32_e32 v4, v4
	v_fmac_f32_e32 v3, 0xcf800000, v4
	v_cvt_u32_f32_e32 v4, v4
	v_cvt_u32_f32_e32 v3, v3
	v_mul_lo_u32 v9, s0, v4
	v_mul_hi_u32 v12, s0, v3
	v_mul_lo_u32 v13, s26, v3
	v_add_nc_u32_e32 v9, v12, v9
	v_mul_lo_u32 v12, s0, v3
	v_add_nc_u32_e32 v9, v9, v13
	v_mul_hi_u32 v13, v3, v12
	v_mul_lo_u32 v14, v3, v9
	v_mul_hi_u32 v15, v3, v9
	v_mul_hi_u32 v16, v4, v12
	v_mul_lo_u32 v12, v4, v12
	v_mul_hi_u32 v17, v4, v9
	v_mul_lo_u32 v9, v4, v9
	v_add_co_u32 v13, vcc_lo, v13, v14
	v_add_co_ci_u32_e32 v14, vcc_lo, 0, v15, vcc_lo
	v_add_co_u32 v12, vcc_lo, v13, v12
	v_add_co_ci_u32_e32 v12, vcc_lo, v14, v16, vcc_lo
	v_add_co_ci_u32_e32 v13, vcc_lo, 0, v17, vcc_lo
	v_add_co_u32 v9, vcc_lo, v12, v9
	v_add_co_ci_u32_e32 v12, vcc_lo, 0, v13, vcc_lo
	v_add_co_u32 v3, vcc_lo, v3, v9
	v_add_co_ci_u32_e32 v4, vcc_lo, v4, v12, vcc_lo
	v_mul_hi_u32 v9, s0, v3
	v_mul_lo_u32 v13, s26, v3
	v_mul_lo_u32 v12, s0, v4
	v_add_nc_u32_e32 v9, v9, v12
	v_mul_lo_u32 v12, s0, v3
	v_add_nc_u32_e32 v9, v9, v13
	v_mul_hi_u32 v13, v3, v12
	v_mul_lo_u32 v14, v3, v9
	v_mul_hi_u32 v15, v3, v9
	v_mul_hi_u32 v16, v4, v12
	v_mul_lo_u32 v12, v4, v12
	v_mul_hi_u32 v17, v4, v9
	v_mul_lo_u32 v9, v4, v9
	v_add_co_u32 v13, vcc_lo, v13, v14
	v_add_co_ci_u32_e32 v14, vcc_lo, 0, v15, vcc_lo
	v_add_co_u32 v12, vcc_lo, v13, v12
	v_add_co_ci_u32_e32 v12, vcc_lo, v14, v16, vcc_lo
	v_add_co_ci_u32_e32 v13, vcc_lo, 0, v17, vcc_lo
	v_add_co_u32 v9, vcc_lo, v12, v9
	v_add_co_ci_u32_e32 v12, vcc_lo, 0, v13, vcc_lo
	v_add_co_u32 v9, vcc_lo, v3, v9
	v_add_co_ci_u32_e32 v14, vcc_lo, v4, v12, vcc_lo
	v_mul_hi_u32 v16, v10, v9
	v_mad_u64_u32 v[12:13], null, v11, v9, 0
	v_mad_u64_u32 v[3:4], null, v10, v14, 0
	v_mad_u64_u32 v[14:15], null, v11, v14, 0
	v_add_co_u32 v3, vcc_lo, v16, v3
	v_add_co_ci_u32_e32 v4, vcc_lo, 0, v4, vcc_lo
	v_add_co_u32 v3, vcc_lo, v3, v12
	v_add_co_ci_u32_e32 v3, vcc_lo, v4, v13, vcc_lo
	v_add_co_ci_u32_e32 v4, vcc_lo, 0, v15, vcc_lo
	v_add_co_u32 v9, vcc_lo, v3, v14
	v_add_co_ci_u32_e32 v12, vcc_lo, 0, v4, vcc_lo
	v_mul_lo_u32 v13, s25, v9
	v_mad_u64_u32 v[3:4], null, s24, v9, 0
	v_mul_lo_u32 v14, s24, v12
	v_sub_co_u32 v3, vcc_lo, v10, v3
	v_add3_u32 v4, v4, v14, v13
	v_sub_nc_u32_e32 v13, v11, v4
	v_subrev_co_ci_u32_e64 v13, s0, s25, v13, vcc_lo
	v_add_co_u32 v14, s0, v9, 2
	v_add_co_ci_u32_e64 v15, s0, 0, v12, s0
	v_sub_co_u32 v16, s0, v3, s24
	v_sub_co_ci_u32_e32 v4, vcc_lo, v11, v4, vcc_lo
	v_subrev_co_ci_u32_e64 v13, s0, 0, v13, s0
	v_cmp_le_u32_e32 vcc_lo, s24, v16
	v_cmp_eq_u32_e64 s0, s25, v4
	v_cndmask_b32_e64 v16, 0, -1, vcc_lo
	v_cmp_le_u32_e32 vcc_lo, s25, v13
	v_cndmask_b32_e64 v17, 0, -1, vcc_lo
	v_cmp_le_u32_e32 vcc_lo, s24, v3
	;; [unrolled: 2-line block ×3, first 2 shown]
	v_cndmask_b32_e64 v18, 0, -1, vcc_lo
	v_cmp_eq_u32_e32 vcc_lo, s25, v13
	v_cndmask_b32_e64 v3, v18, v3, s0
	v_cndmask_b32_e32 v13, v17, v16, vcc_lo
	v_add_co_u32 v16, vcc_lo, v9, 1
	v_add_co_ci_u32_e32 v17, vcc_lo, 0, v12, vcc_lo
	v_cmp_ne_u32_e32 vcc_lo, 0, v13
	v_cndmask_b32_e32 v4, v17, v15, vcc_lo
	v_cndmask_b32_e32 v13, v16, v14, vcc_lo
	v_cmp_ne_u32_e32 vcc_lo, 0, v3
	v_cndmask_b32_e32 v4, v12, v4, vcc_lo
	v_cndmask_b32_e32 v3, v9, v13, vcc_lo
.LBB0_4:                                ;   in Loop: Header=BB0_2 Depth=1
	s_andn2_saveexec_b32 s0, s1
	s_cbranch_execz .LBB0_6
; %bb.5:                                ;   in Loop: Header=BB0_2 Depth=1
	v_cvt_f32_u32_e32 v3, s24
	s_sub_i32 s1, 0, s24
	v_rcp_iflag_f32_e32 v3, v3
	v_mul_f32_e32 v3, 0x4f7ffffe, v3
	v_cvt_u32_f32_e32 v3, v3
	v_mul_lo_u32 v4, s1, v3
	v_mul_hi_u32 v4, v3, v4
	v_add_nc_u32_e32 v3, v3, v4
	v_mul_hi_u32 v3, v10, v3
	v_mul_lo_u32 v4, v3, s24
	v_add_nc_u32_e32 v9, 1, v3
	v_sub_nc_u32_e32 v4, v10, v4
	v_subrev_nc_u32_e32 v12, s24, v4
	v_cmp_le_u32_e32 vcc_lo, s24, v4
	v_cndmask_b32_e32 v4, v4, v12, vcc_lo
	v_cndmask_b32_e32 v3, v3, v9, vcc_lo
	v_cmp_le_u32_e32 vcc_lo, s24, v4
	v_add_nc_u32_e32 v9, 1, v3
	v_mov_b32_e32 v4, v8
	v_cndmask_b32_e32 v3, v3, v9, vcc_lo
.LBB0_6:                                ;   in Loop: Header=BB0_2 Depth=1
	s_or_b32 exec_lo, exec_lo, s0
	v_mul_lo_u32 v9, v4, s24
	v_mul_lo_u32 v14, v3, s25
	s_load_dwordx2 s[0:1], s[6:7], 0x0
	v_mad_u64_u32 v[12:13], null, v3, s24, 0
	s_load_dwordx2 s[24:25], s[2:3], 0x0
	s_add_u32 s22, s22, 1
	s_addc_u32 s23, s23, 0
	s_add_u32 s2, s2, 8
	s_addc_u32 s3, s3, 0
	s_add_u32 s6, s6, 8
	v_add3_u32 v9, v13, v14, v9
	v_sub_co_u32 v10, vcc_lo, v10, v12
	s_addc_u32 s7, s7, 0
	s_add_u32 s20, s20, 8
	v_sub_co_ci_u32_e32 v9, vcc_lo, v11, v9, vcc_lo
	s_addc_u32 s21, s21, 0
	s_waitcnt lgkmcnt(0)
	v_mul_lo_u32 v11, s0, v9
	v_mul_lo_u32 v12, s1, v10
	v_mad_u64_u32 v[6:7], null, s0, v10, v[6:7]
	v_mul_lo_u32 v9, s24, v9
	v_mul_lo_u32 v13, s25, v10
	v_mad_u64_u32 v[1:2], null, s24, v10, v[1:2]
	v_cmp_ge_u64_e64 s0, s[22:23], s[14:15]
	v_add3_u32 v7, v12, v7, v11
	v_add3_u32 v2, v13, v2, v9
	s_and_b32 vcc_lo, exec_lo, s0
	s_cbranch_vccnz .LBB0_9
; %bb.7:                                ;   in Loop: Header=BB0_2 Depth=1
	v_mov_b32_e32 v11, v4
	v_mov_b32_e32 v10, v3
	s_branch .LBB0_2
.LBB0_8:
	v_mov_b32_e32 v1, v6
	v_mov_b32_e32 v3, v10
	;; [unrolled: 1-line block ×4, first 2 shown]
.LBB0_9:
	s_load_dwordx2 s[0:1], s[4:5], 0x28
	v_and_b32_e32 v5, 1, v5
	v_mul_hi_u32 v8, 0x2d02d03, v0
	s_lshl_b64 s[4:5], s[14:15], 3
	s_add_u32 s2, s18, s4
	s_addc_u32 s3, s19, s5
	s_waitcnt lgkmcnt(0)
	v_cmp_gt_u64_e32 vcc_lo, s[0:1], v[3:4]
	v_cmp_le_u64_e64 s1, s[0:1], v[3:4]
	v_cmp_eq_u32_e64 s0, 1, v5
                                        ; implicit-def: $vgpr5
	s_and_saveexec_b32 s6, s1
	s_xor_b32 s1, exec_lo, s6
; %bb.10:
	v_mul_u32_u24_e32 v5, 0x5b, v8
                                        ; implicit-def: $vgpr8
                                        ; implicit-def: $vgpr6_vgpr7
	v_sub_nc_u32_e32 v5, v0, v5
                                        ; implicit-def: $vgpr0
; %bb.11:
	s_or_saveexec_b32 s1, s1
	s_load_dwordx2 s[2:3], s[2:3], 0x0
	v_cndmask_b32_e64 v10, 0, 0x38f, s0
	v_lshlrev_b32_e32 v25, 2, v10
	s_xor_b32 exec_lo, exec_lo, s1
	s_cbranch_execz .LBB0_15
; %bb.12:
	s_add_u32 s4, s16, s4
	s_addc_u32 s5, s17, s5
	v_lshlrev_b64 v[6:7], 2, v[6:7]
	s_load_dwordx2 s[4:5], s[4:5], 0x0
	s_waitcnt lgkmcnt(0)
	v_mul_lo_u32 v5, s5, v3
	v_mul_lo_u32 v9, s4, v4
	v_mad_u64_u32 v[11:12], null, s4, v3, 0
	s_mov_b32 s4, exec_lo
	v_add3_u32 v12, v12, v9, v5
	v_mul_u32_u24_e32 v5, 0x5b, v8
	v_lshlrev_b64 v[8:9], 2, v[11:12]
	v_sub_nc_u32_e32 v5, v0, v5
	v_add_co_u32 v0, s0, s8, v8
	v_add_co_ci_u32_e64 v8, s0, s9, v9, s0
	v_lshlrev_b32_e32 v9, 2, v5
	v_add_co_u32 v0, s0, v0, v6
	v_add_co_ci_u32_e64 v6, s0, v8, v7, s0
	v_add_co_u32 v7, s0, v0, v9
	v_add_co_ci_u32_e64 v8, s0, 0, v6, s0
	;; [unrolled: 2-line block ×3, first 2 shown]
	s_clause 0x9
	global_load_dword v13, v[7:8], off
	global_load_dword v14, v[7:8], off offset:364
	global_load_dword v15, v[7:8], off offset:728
	global_load_dword v16, v[7:8], off offset:1092
	global_load_dword v17, v[7:8], off offset:1456
	global_load_dword v8, v[7:8], off offset:1820
	global_load_dword v18, v[11:12], off offset:136
	global_load_dword v19, v[11:12], off offset:500
	global_load_dword v20, v[11:12], off offset:864
	global_load_dword v11, v[11:12], off offset:1228
	v_add3_u32 v7, 0, v25, v9
	v_add_nc_u32_e32 v9, 0x200, v7
	v_add_nc_u32_e32 v12, 0x400, v7
	;; [unrolled: 1-line block ×4, first 2 shown]
	s_waitcnt vmcnt(8)
	ds_write2_b32 v7, v13, v14 offset1:91
	s_waitcnt vmcnt(6)
	ds_write2_b32 v9, v15, v16 offset0:54 offset1:145
	s_waitcnt vmcnt(4)
	ds_write2_b32 v12, v17, v8 offset0:108 offset1:199
	;; [unrolled: 2-line block ×4, first 2 shown]
	v_cmpx_eq_u32_e32 0x5a, v5
	s_cbranch_execz .LBB0_14
; %bb.13:
	v_add_co_u32 v5, s0, 0x800, v0
	v_add_co_ci_u32_e64 v6, s0, 0, v6, s0
	global_load_dword v0, v[5:6], off offset:1592
	v_mov_b32_e32 v5, 0x5a
	s_waitcnt vmcnt(0)
	ds_write_b32 v7, v0 offset:3280
.LBB0_14:
	s_or_b32 exec_lo, exec_lo, s4
.LBB0_15:
	s_or_b32 exec_lo, exec_lo, s1
	v_lshl_add_u32 v0, v10, 2, 0
	v_lshlrev_b32_e32 v7, 2, v5
	s_waitcnt lgkmcnt(0)
	s_barrier
	buffer_gl0_inv
	s_add_u32 s1, s12, 0xe04
	v_add_nc_u32_e32 v24, v0, v7
	v_sub_nc_u32_e32 v11, v0, v7
	s_addc_u32 s4, s13, 0
	s_mov_b32 s5, exec_lo
	ds_read_u16 v14, v24
	ds_read_u16 v15, v11 offset:3640
                                        ; implicit-def: $vgpr8_vgpr9
	s_waitcnt lgkmcnt(0)
	v_add_f16_e32 v13, v15, v14
	v_sub_f16_e32 v12, v14, v15
	v_cmpx_ne_u32_e32 0, v5
	s_xor_b32 s5, exec_lo, s5
	s_cbranch_execz .LBB0_17
; %bb.16:
	v_mov_b32_e32 v6, 0
	v_add_f16_e32 v13, v15, v14
	v_sub_f16_e32 v14, v14, v15
	v_lshlrev_b64 v[8:9], 2, v[5:6]
	v_add_co_u32 v8, s0, s1, v8
	v_add_co_ci_u32_e64 v9, s0, s4, v9, s0
	global_load_dword v8, v[8:9], off
	ds_read_u16 v9, v11 offset:3642
	ds_read_u16 v12, v24 offset:2
	s_waitcnt lgkmcnt(0)
	v_add_f16_e32 v15, v9, v12
	v_sub_f16_e32 v9, v12, v9
	s_waitcnt vmcnt(0)
	v_lshrrev_b32_e32 v16, 16, v8
	v_fma_f16 v17, -v14, v16, v13
	v_fma_f16 v18, v15, v16, -v9
	v_fma_f16 v12, v15, v16, v9
	v_fma_f16 v13, v14, v16, v13
	v_fmac_f16_e32 v17, v8, v15
	v_fmac_f16_e32 v18, v14, v8
	v_fmac_f16_e32 v12, v14, v8
	v_fma_f16 v13, -v8, v15, v13
	v_mov_b32_e32 v9, v6
	v_mov_b32_e32 v8, v5
	v_pack_b32_f16 v14, v17, v18
	ds_write_b32 v11, v14 offset:3640
.LBB0_17:
	s_andn2_saveexec_b32 s0, s5
	s_cbranch_execz .LBB0_19
; %bb.18:
	ds_read_b32 v6, v0 offset:1820
	v_mov_b32_e32 v8, 0
	v_mov_b32_e32 v9, 0
	s_waitcnt lgkmcnt(0)
	v_pk_mul_f16 v6, 0xc0004000, v6
	ds_write_b32 v0, v6 offset:1820
.LBB0_19:
	s_or_b32 exec_lo, exec_lo, s0
	v_lshlrev_b64 v[8:9], 2, v[8:9]
	v_lshl_add_u32 v32, v5, 2, 0
	v_mov_b32_e32 v91, 0xbbf1
	v_mov_b32_e32 v84, 0xba95
	;; [unrolled: 1-line block ×4, first 2 shown]
	v_add_co_u32 v8, s0, s1, v8
	v_add_co_ci_u32_e64 v9, s0, s4, v9, s0
	v_mov_b32_e32 v92, 0xb94e
	s_mov_b32 s1, exec_lo
	s_clause 0x3
	global_load_dword v6, v[8:9], off offset:364
	global_load_dword v14, v[8:9], off offset:728
	;; [unrolled: 1-line block ×4, first 2 shown]
	v_perm_b32 v9, v12, v13, 0x5040100
	ds_write_b32 v24, v9
	ds_read_b32 v9, v24 offset:364
	ds_read_b32 v12, v11 offset:3276
	s_waitcnt lgkmcnt(0)
	v_add_f16_e32 v13, v9, v12
	v_add_f16_sdwa v16, v12, v9 dst_sel:DWORD dst_unused:UNUSED_PAD src0_sel:WORD_1 src1_sel:WORD_1
	v_sub_f16_e32 v17, v9, v12
	v_sub_f16_sdwa v9, v9, v12 dst_sel:DWORD dst_unused:UNUSED_PAD src0_sel:WORD_1 src1_sel:WORD_1
	s_waitcnt vmcnt(3)
	v_lshrrev_b32_e32 v18, 16, v6
	v_fma_f16 v12, v17, v18, v13
	v_fma_f16 v19, v16, v18, v9
	v_fma_f16 v13, -v17, v18, v13
	v_fma_f16 v9, v16, v18, -v9
	v_fma_f16 v12, -v6, v16, v12
	v_fmac_f16_e32 v19, v17, v6
	v_fmac_f16_e32 v13, v6, v16
	;; [unrolled: 1-line block ×3, first 2 shown]
	v_pack_b32_f16 v6, v12, v19
	s_waitcnt vmcnt(2)
	v_lshrrev_b32_e32 v12, 16, v14
	v_pack_b32_f16 v9, v13, v9
	ds_write_b32 v24, v6 offset:364
	ds_write_b32 v11, v9 offset:3276
	ds_read_b32 v6, v24 offset:728
	ds_read_b32 v9, v11 offset:2912
	s_waitcnt lgkmcnt(0)
	v_add_f16_e32 v13, v6, v9
	v_add_f16_sdwa v16, v9, v6 dst_sel:DWORD dst_unused:UNUSED_PAD src0_sel:WORD_1 src1_sel:WORD_1
	v_sub_f16_e32 v17, v6, v9
	v_sub_f16_sdwa v6, v6, v9 dst_sel:DWORD dst_unused:UNUSED_PAD src0_sel:WORD_1 src1_sel:WORD_1
	v_fma_f16 v9, v17, v12, v13
	v_fma_f16 v18, v16, v12, v6
	v_fma_f16 v13, -v17, v12, v13
	v_fma_f16 v6, v16, v12, -v6
	s_waitcnt vmcnt(1)
	v_lshrrev_b32_e32 v12, 16, v15
	v_fma_f16 v9, -v14, v16, v9
	v_fmac_f16_e32 v18, v17, v14
	v_fmac_f16_e32 v13, v14, v16
	;; [unrolled: 1-line block ×3, first 2 shown]
	v_pack_b32_f16 v9, v9, v18
	v_pack_b32_f16 v6, v13, v6
	ds_write_b32 v24, v9 offset:728
	ds_write_b32 v11, v6 offset:2912
	ds_read_b32 v6, v24 offset:1092
	ds_read_b32 v9, v11 offset:2548
	s_waitcnt lgkmcnt(0)
	v_add_f16_e32 v13, v6, v9
	v_add_f16_sdwa v14, v9, v6 dst_sel:DWORD dst_unused:UNUSED_PAD src0_sel:WORD_1 src1_sel:WORD_1
	v_sub_f16_e32 v16, v6, v9
	v_sub_f16_sdwa v6, v6, v9 dst_sel:DWORD dst_unused:UNUSED_PAD src0_sel:WORD_1 src1_sel:WORD_1
	v_fma_f16 v9, v16, v12, v13
	v_fma_f16 v17, v14, v12, v6
	v_fma_f16 v13, -v16, v12, v13
	v_fma_f16 v6, v14, v12, -v6
	s_waitcnt vmcnt(0)
	v_lshrrev_b32_e32 v12, 16, v8
	v_fma_f16 v9, -v15, v14, v9
	v_fmac_f16_e32 v17, v16, v15
	v_fmac_f16_e32 v13, v15, v14
	;; [unrolled: 1-line block ×3, first 2 shown]
	v_pack_b32_f16 v9, v9, v17
	v_pack_b32_f16 v6, v13, v6
	ds_write_b32 v24, v9 offset:1092
	ds_write_b32 v11, v6 offset:2548
	ds_read_b32 v6, v24 offset:1456
	ds_read_b32 v9, v11 offset:2184
	s_waitcnt lgkmcnt(0)
	v_add_f16_e32 v13, v6, v9
	v_add_f16_sdwa v14, v9, v6 dst_sel:DWORD dst_unused:UNUSED_PAD src0_sel:WORD_1 src1_sel:WORD_1
	v_sub_f16_e32 v15, v6, v9
	v_sub_f16_sdwa v6, v6, v9 dst_sel:DWORD dst_unused:UNUSED_PAD src0_sel:WORD_1 src1_sel:WORD_1
	v_fma_f16 v9, v15, v12, v13
	v_fma_f16 v16, v14, v12, v6
	v_fma_f16 v13, -v15, v12, v13
	v_fma_f16 v12, v14, v12, -v6
	v_lshl_add_u32 v6, v10, 2, v32
	v_fma_f16 v9, -v8, v14, v9
	v_fmac_f16_e32 v16, v15, v8
	v_fmac_f16_e32 v13, v8, v14
	;; [unrolled: 1-line block ×3, first 2 shown]
	v_add_nc_u32_e32 v29, 0x200, v6
	v_add_nc_u32_e32 v10, 0x800, v6
	v_pack_b32_f16 v8, v9, v16
	v_add_nc_u32_e32 v31, 0x400, v6
	v_pack_b32_f16 v9, v13, v12
	v_add_nc_u32_e32 v12, 0xc00, v6
	ds_write_b32 v24, v8 offset:1456
	ds_write_b32 v11, v9 offset:2184
	s_waitcnt lgkmcnt(0)
	s_barrier
	buffer_gl0_inv
	s_barrier
	buffer_gl0_inv
	ds_read2_b32 v[12:13], v12 offset0:2 offset1:72
	ds_read2_b32 v[16:17], v6 offset0:70 offset1:140
	v_add_nc_u32_e32 v30, 0x600, v6
	ds_read2_b32 v[18:19], v29 offset0:82 offset1:152
	ds_read2_b32 v[14:15], v10 offset0:118 offset1:188
	;; [unrolled: 1-line block ×4, first 2 shown]
	ds_read_b32 v45, v24
	v_mov_b32_e32 v8, 0xb770
	v_mov_b32_e32 v9, 0xb3a8
	v_mov_b32_e32 v11, 0x3b7b
	s_waitcnt lgkmcnt(0)
	s_barrier
	buffer_gl0_inv
	v_pk_add_f16 v43, v13, v16
	v_pk_add_f16 v41, v16, v13 neg_lo:[0,1] neg_hi:[0,1]
	v_pk_add_f16 v42, v12, v17
	v_pk_add_f16 v38, v17, v12 neg_lo:[0,1] neg_hi:[0,1]
	v_pk_add_f16 v37, v14, v19
	v_pk_add_f16 v36, v21, v22
	v_pk_add_f16 v39, v23, v20 neg_lo:[0,1] neg_hi:[0,1]
	v_pk_add_f16 v44, v20, v23
	v_mul_f16_sdwa v51, v41, v8 dst_sel:DWORD dst_unused:UNUSED_PAD src0_sel:WORD_1 src1_sel:DWORD
	v_lshrrev_b32_e32 v86, 16, v43
	v_mul_f16_e32 v57, 0xba95, v41
	v_mul_f16_sdwa v77, v41, v91 dst_sel:DWORD dst_unused:UNUSED_PAD src0_sel:WORD_1 src1_sel:DWORD
	v_mul_f16_e32 v89, 0xbbf1, v41
	v_pk_mul_f16 v8, 0x3b15388b, v43
	v_pk_add_f16 v40, v15, v18
	v_pk_add_f16 v35, v18, v15 neg_lo:[0,1] neg_hi:[0,1]
	v_pk_add_f16 v34, v19, v14 neg_lo:[0,1] neg_hi:[0,1]
	;; [unrolled: 1-line block ×3, first 2 shown]
	v_mul_f16_sdwa v50, v38, v84 dst_sel:DWORD dst_unused:UNUSED_PAD src0_sel:WORD_1 src1_sel:DWORD
	v_lshrrev_b32_e32 v85, 16, v42
	v_mul_f16_e32 v58, 0xbb7b, v38
	v_mul_f16_sdwa v76, v38, v9 dst_sel:DWORD dst_unused:UNUSED_PAD src0_sel:WORD_1 src1_sel:DWORD
	v_mul_f16_e32 v90, 0xb3a8, v38
	v_mul_f16_sdwa v46, v39, v9 dst_sel:DWORD dst_unused:UNUSED_PAD src0_sel:WORD_1 src1_sel:DWORD
	v_pk_mul_f16 v9, 0x388bb5ac, v42
	v_pk_mul_f16 v26, 0xb5acb9fd, v37
	v_pk_mul_f16 v27, 0xb9fd2fb7, v36
	v_pk_mul_f16 v28, 0xbbc43b15, v44
	v_fmamk_f16 v93, v43, 0x3b15, v51
	v_fma_f16 v94, v86, 0x388b, -v57
	v_fmamk_f16 v95, v43, 0x2fb7, v77
	v_fma_f16 v96, v86, 0x2fb7, -v89
	v_pk_fma_f16 v66, 0xba95b770, v41, v8 op_sel:[0,0,1] op_sel_hi:[1,1,0]
	v_pk_fma_f16 v73, 0xba95b770, v41, v8 op_sel:[0,0,1] op_sel_hi:[1,1,0] neg_lo:[0,1,0] neg_hi:[0,1,0]
	v_mul_f16_sdwa v49, v35, v91 dst_sel:DWORD dst_unused:UNUSED_PAD src0_sel:WORD_1 src1_sel:DWORD
	v_lshrrev_b32_e32 v83, 16, v40
	v_mul_f16_e32 v56, 0xb3a8, v35
	v_mul_f16_sdwa v68, v35, v11 dst_sel:DWORD dst_unused:UNUSED_PAD src0_sel:WORD_1 src1_sel:DWORD
	v_mul_f16_e32 v88, 0x3b7b, v35
	v_pk_mul_f16 v11, 0x2fb7bbc4, v40
	v_fmamk_f16 v97, v42, 0x388b, v50
	v_fma_f16 v98, v85, 0xb5ac, -v58
	v_fmamk_f16 v99, v42, 0xbbc4, v76
	v_fma_f16 v100, v85, 0xbbc4, -v90
	v_pk_fma_f16 v67, 0xbb7bba95, v38, v9 op_sel:[0,0,1] op_sel_hi:[1,1,0]
	v_pk_fma_f16 v63, 0x394ebb7b, v34, v26 op_sel:[0,0,1] op_sel_hi:[1,1,0]
	;; [unrolled: 1-line block ×4, first 2 shown]
	v_pk_fma_f16 v74, 0xbb7bba95, v38, v9 op_sel:[0,0,1] op_sel_hi:[1,1,0] neg_lo:[0,1,0] neg_hi:[0,1,0]
	v_pk_fma_f16 v71, 0x394ebb7b, v34, v26 op_sel:[0,0,1] op_sel_hi:[1,1,0] neg_lo:[0,1,0] neg_hi:[0,1,0]
	;; [unrolled: 1-line block ×4, first 2 shown]
	v_add_f16_e32 v8, v45, v93
	v_add_f16_sdwa v9, v45, v94 dst_sel:DWORD dst_unused:UNUSED_PAD src0_sel:WORD_1 src1_sel:DWORD
	v_add_f16_e32 v26, v45, v95
	v_add_f16_sdwa v27, v45, v96 dst_sel:DWORD dst_unused:UNUSED_PAD src0_sel:WORD_1 src1_sel:DWORD
	v_add_f16_sdwa v28, v45, v66 dst_sel:DWORD dst_unused:UNUSED_PAD src0_sel:DWORD src1_sel:WORD_1
	v_add_f16_sdwa v93, v45, v73 dst_sel:DWORD dst_unused:UNUSED_PAD src0_sel:WORD_1 src1_sel:DWORD
	v_mul_f16_sdwa v48, v34, v75 dst_sel:DWORD dst_unused:UNUSED_PAD src0_sel:WORD_1 src1_sel:DWORD
	v_lshrrev_b32_e32 v81, 16, v37
	v_mul_f16_e32 v53, 0x394e, v34
	v_mul_f16_sdwa v61, v34, v79 dst_sel:DWORD dst_unused:UNUSED_PAD src0_sel:WORD_1 src1_sel:DWORD
	v_mul_f16_e32 v87, 0x3770, v34
	v_fmamk_f16 v101, v40, 0x2fb7, v49
	v_fma_f16 v102, v83, 0xbbc4, -v56
	v_fmamk_f16 v103, v40, 0xb5ac, v68
	v_fma_f16 v104, v83, 0xb5ac, -v88
	v_pk_fma_f16 v65, 0xb3a8bbf1, v35, v11 op_sel:[0,0,1] op_sel_hi:[1,1,0]
	v_pk_fma_f16 v72, 0xb3a8bbf1, v35, v11 op_sel:[0,0,1] op_sel_hi:[1,1,0] neg_lo:[0,1,0] neg_hi:[0,1,0]
	v_add_f16_e32 v8, v97, v8
	v_add_f16_e32 v9, v98, v9
	;; [unrolled: 1-line block ×4, first 2 shown]
	v_add_f16_sdwa v28, v67, v28 dst_sel:DWORD dst_unused:UNUSED_PAD src0_sel:WORD_1 src1_sel:DWORD
	v_add_f16_e32 v93, v74, v93
	v_mul_f16_sdwa v47, v33, v92 dst_sel:DWORD dst_unused:UNUSED_PAD src0_sel:WORD_1 src1_sel:DWORD
	v_lshrrev_b32_e32 v80, 16, v36
	v_mul_f16_e32 v52, 0x3bf1, v33
	v_mul_f16_sdwa v60, v33, v84 dst_sel:DWORD dst_unused:UNUSED_PAD src0_sel:WORD_1 src1_sel:DWORD
	v_mul_f16_e32 v82, 0xba95, v33
	v_fmamk_f16 v105, v37, 0xb5ac, v48
	v_fma_f16 v106, v81, 0xb9fd, -v53
	v_fmamk_f16 v107, v37, 0x3b15, v61
	v_fma_f16 v108, v81, 0x3b15, -v87
	v_add_f16_e32 v8, v101, v8
	v_add_f16_e32 v9, v102, v9
	;; [unrolled: 1-line block ×4, first 2 shown]
	v_add_f16_sdwa v28, v65, v28 dst_sel:DWORD dst_unused:UNUSED_PAD src0_sel:WORD_1 src1_sel:DWORD
	v_add_f16_e32 v93, v72, v93
	v_lshrrev_b32_e32 v78, 16, v44
	v_mul_f16_e32 v54, 0x3770, v39
	v_mul_f16_e32 v55, 0xb94e, v39
	v_mul_f16_sdwa v59, v39, v92 dst_sel:DWORD dst_unused:UNUSED_PAD src0_sel:WORD_1 src1_sel:DWORD
	v_fmamk_f16 v109, v36, 0xb9fd, v47
	v_fma_f16 v110, v80, 0x2fb7, -v52
	v_fmamk_f16 v111, v36, 0x388b, v60
	v_fma_f16 v112, v80, 0x388b, -v82
	v_add_f16_e32 v8, v105, v8
	v_add_f16_e32 v9, v106, v9
	;; [unrolled: 1-line block ×3, first 2 shown]
	v_add_f16_sdwa v28, v63, v28 dst_sel:DWORD dst_unused:UNUSED_PAD src0_sel:WORD_1 src1_sel:DWORD
	v_add_f16_e32 v27, v108, v27
	v_add_f16_e32 v93, v71, v93
	v_fmamk_f16 v113, v44, 0xbbc4, v46
	v_fma_f16 v114, v78, 0x3b15, -v54
	v_fma_f16 v115, v78, 0xb9fd, -v55
	v_fmamk_f16 v11, v44, 0xb9fd, v59
	v_add_f16_e32 v8, v109, v8
	v_add_f16_e32 v94, v110, v9
	v_add_f16_sdwa v28, v62, v28 dst_sel:DWORD dst_unused:UNUSED_PAD src0_sel:WORD_1 src1_sel:DWORD
	v_add_f16_e32 v95, v111, v26
	v_add_f16_e32 v27, v112, v27
	;; [unrolled: 1-line block ×4, first 2 shown]
	v_add_f16_sdwa v8, v64, v28 dst_sel:DWORD dst_unused:UNUSED_PAD src0_sel:WORD_1 src1_sel:DWORD
	v_add_f16_e32 v26, v114, v94
	v_add_f16_e32 v27, v115, v27
	;; [unrolled: 1-line block ×4, first 2 shown]
	v_cmpx_gt_u32_e32 0x46, v5
	s_cbranch_execz .LBB0_21
; %bb.20:
	v_mul_f16_e32 v93, 0xb5ac, v86
	v_mul_f16_sdwa v94, v41, v75 dst_sel:DWORD dst_unused:UNUSED_PAD src0_sel:WORD_1 src1_sel:DWORD
	v_mov_b32_e32 v95, 0x394e
	v_mul_f16_e32 v96, 0xb9fd, v85
	v_mul_f16_e32 v97, 0x3b15, v83
	v_fmamk_f16 v98, v41, 0x3b7b, v93
	v_fmamk_f16 v100, v43, 0xb5ac, v94
	v_mul_f16_sdwa v95, v38, v95 dst_sel:DWORD dst_unused:UNUSED_PAD src0_sel:WORD_1 src1_sel:DWORD
	v_fmamk_f16 v101, v38, 0xb94e, v96
	v_mul_f16_sdwa v99, v35, v79 dst_sel:DWORD dst_unused:UNUSED_PAD src0_sel:WORD_1 src1_sel:DWORD
	v_add_f16_sdwa v98, v45, v98 dst_sel:DWORD dst_unused:UNUSED_PAD src0_sel:WORD_1 src1_sel:DWORD
	v_mul_f16_e32 v102, 0x2fb7, v81
	v_fmamk_f16 v103, v35, 0xb770, v97
	v_add_f16_e32 v100, v45, v100
	v_fmamk_f16 v104, v42, 0xb9fd, v95
	v_add_f16_e32 v98, v101, v98
	v_mul_f16_sdwa v91, v34, v91 dst_sel:DWORD dst_unused:UNUSED_PAD src0_sel:WORD_1 src1_sel:DWORD
	v_fmamk_f16 v101, v40, 0x3b15, v99
	v_fmamk_f16 v105, v34, 0x3bf1, v102
	v_add_f16_e32 v100, v104, v100
	v_add_f16_e32 v98, v103, v98
	v_mul_f16_e32 v103, 0xbbc4, v80
	v_mov_b32_e32 v104, 0x33a8
	v_fmamk_f16 v106, v37, 0x2fb7, v91
	v_add_f16_e32 v100, v101, v100
	v_add_f16_e32 v98, v105, v98
	v_fmamk_f16 v101, v33, 0xb3a8, v103
	v_mul_f16_sdwa v105, v33, v104 dst_sel:DWORD dst_unused:UNUSED_PAD src0_sel:WORD_1 src1_sel:DWORD
	v_mul_f16_e32 v107, 0x388b, v78
	v_mov_b32_e32 v108, 0x3a95
	v_add_f16_e32 v100, v106, v100
	v_add_f16_e32 v98, v101, v98
	v_fmamk_f16 v101, v36, 0xbbc4, v105
	v_fmamk_f16 v106, v39, 0xba95, v107
	v_mul_f16_sdwa v108, v39, v108 dst_sel:DWORD dst_unused:UNUSED_PAD src0_sel:WORD_1 src1_sel:DWORD
	v_mul_f16_sdwa v92, v41, v92 dst_sel:DWORD dst_unused:UNUSED_PAD src0_sel:WORD_1 src1_sel:DWORD
	v_fmac_f16_e32 v93, 0xbb7b, v41
	v_add_f16_e32 v100, v101, v100
	v_add_f16_e32 v98, v106, v98
	v_fmamk_f16 v101, v44, 0x388b, v108
	v_mov_b32_e32 v106, 0x3bf1
	v_mul_f16_sdwa v84, v35, v84 dst_sel:DWORD dst_unused:UNUSED_PAD src0_sel:WORD_1 src1_sel:DWORD
	v_add_f16_sdwa v93, v45, v93 dst_sel:DWORD dst_unused:UNUSED_PAD src0_sel:WORD_1 src1_sel:DWORD
	v_fmac_f16_e32 v96, 0x394e, v38
	v_add_f16_e32 v100, v101, v100
	v_fmamk_f16 v101, v43, 0xb9fd, v92
	v_mul_f16_sdwa v106, v38, v106 dst_sel:DWORD dst_unused:UNUSED_PAD src0_sel:WORD_1 src1_sel:DWORD
	v_fma_f16 v92, v43, 0xb9fd, -v92
	v_mul_f16_sdwa v104, v34, v104 dst_sel:DWORD dst_unused:UNUSED_PAD src0_sel:WORD_1 src1_sel:DWORD
	v_add_f16_e32 v93, v96, v93
	v_add_f16_e32 v101, v45, v101
	v_fmamk_f16 v114, v42, 0x2fb7, v106
	v_add_f16_e32 v92, v45, v92
	v_fma_f16 v106, v42, 0x2fb7, -v106
	v_fmac_f16_e32 v97, 0x3770, v35
	v_mul_f16_sdwa v79, v33, v79 dst_sel:DWORD dst_unused:UNUSED_PAD src0_sel:WORD_1 src1_sel:DWORD
	v_add_f16_e32 v101, v114, v101
	v_fmamk_f16 v114, v40, 0x388b, v84
	v_add_f16_e32 v92, v106, v92
	v_fma_f16 v84, v40, 0x388b, -v84
	v_add_f16_e32 v93, v97, v93
	v_fmac_f16_e32 v102, 0xbbf1, v34
	v_add_f16_e32 v101, v114, v101
	v_fmamk_f16 v114, v37, 0xbbc4, v104
	v_add_f16_e32 v84, v84, v92
	v_fma_f16 v92, v37, 0xbbc4, -v104
	v_mul_f16_sdwa v75, v39, v75 dst_sel:DWORD dst_unused:UNUSED_PAD src0_sel:WORD_1 src1_sel:DWORD
	v_fmac_f16_e32 v103, 0x33a8, v33
	v_add_f16_e32 v101, v114, v101
	v_fmamk_f16 v114, v36, 0x3b15, v79
	v_add_f16_e32 v84, v92, v84
	v_fma_f16 v79, v36, 0x3b15, -v79
	v_add_f16_e32 v92, v102, v93
	v_fma_f16 v94, v43, 0xb5ac, -v94
	v_add_f16_e32 v101, v114, v101
	v_fmamk_f16 v114, v44, 0xb5ac, v75
	v_add_f16_e32 v79, v79, v84
	v_fma_f16 v75, v44, 0xb5ac, -v75
	v_add_f16_e32 v84, v103, v92
	v_fmac_f16_e32 v107, 0x3a95, v39
	v_add_f16_e32 v92, v45, v94
	v_fma_f16 v94, v42, 0xb9fd, -v95
	v_mul_f16_e32 v95, 0x2fb7, v86
	v_add_f16_e32 v75, v75, v79
	v_add_f16_e32 v79, v107, v84
	v_mul_f16_e32 v84, 0xbbc4, v85
	v_pk_add_f16 v16, v45, v16
	v_add_f16_e32 v89, v89, v95
	v_add_f16_e32 v92, v94, v92
	v_fma_f16 v94, v40, 0x3b15, -v99
	v_add_f16_e32 v84, v90, v84
	v_pk_add_f16 v16, v16, v17
	v_add_f16_sdwa v89, v45, v89 dst_sel:DWORD dst_unused:UNUSED_PAD src0_sel:WORD_1 src1_sel:DWORD
	v_mul_f16_e32 v109, 0xb9fd, v86
	v_mul_f16_e32 v90, 0x3b15, v43
	v_add_f16_e32 v92, v94, v92
	v_mul_f16_e32 v94, 0xb5ac, v83
	v_mul_f16_e32 v86, 0x388b, v86
	v_fma_f16 v91, v37, 0x2fb7, -v91
	v_add_f16_e32 v84, v84, v89
	v_mul_f16_e32 v89, 0x2fb7, v43
	v_pk_add_f16 v16, v16, v18
	v_fmamk_f16 v110, v41, 0x394e, v109
	v_mul_f16_e32 v111, 0x2fb7, v85
	v_fmac_f16_e32 v109, 0xb94e, v41
	v_add_f16_e32 v88, v88, v94
	v_mul_f16_e32 v94, 0x388b, v42
	v_add_f16_e32 v91, v91, v92
	v_mul_f16_e32 v92, 0x3b15, v81
	v_sub_f16_e32 v77, v89, v77
	v_add_f16_e32 v57, v57, v86
	v_sub_f16_e32 v51, v90, v51
	v_pk_add_f16 v16, v16, v19
	v_add_f16_sdwa v110, v45, v110 dst_sel:DWORD dst_unused:UNUSED_PAD src0_sel:WORD_1 src1_sel:DWORD
	v_fmamk_f16 v112, v38, 0xbbf1, v111
	v_mul_f16_e32 v113, 0x388b, v83
	v_add_f16_sdwa v109, v45, v109 dst_sel:DWORD dst_unused:UNUSED_PAD src0_sel:WORD_1 src1_sel:DWORD
	v_fmac_f16_e32 v111, 0x3bf1, v38
	v_alignbit_b32 v95, v45, v45, 16
	v_add_f16_e32 v84, v88, v84
	v_add_f16_e32 v87, v87, v92
	v_mul_f16_e32 v92, 0x2fb7, v40
	v_add_f16_e32 v77, v45, v77
	v_add_f16_sdwa v57, v45, v57 dst_sel:DWORD dst_unused:UNUSED_PAD src0_sel:WORD_1 src1_sel:DWORD
	v_add_f16_e32 v45, v45, v51
	v_sub_f16_e32 v50, v94, v50
	v_pk_add_f16 v16, v16, v22
	v_add_f16_e32 v110, v112, v110
	v_fmamk_f16 v112, v35, 0x3a95, v113
	v_mul_f16_e32 v115, 0xbbc4, v81
	v_add_f16_e32 v109, v111, v109
	v_fmac_f16_e32 v113, 0xba95, v35
	v_mul_f16_e32 v89, 0xb5ac, v37
	v_add_f16_e32 v84, v87, v84
	v_mul_f16_e32 v87, 0x388b, v80
	v_add_f16_e32 v45, v50, v45
	v_sub_f16_e32 v19, v92, v49
	v_pk_add_f16 v16, v16, v23
	v_add_f16_e32 v110, v112, v110
	v_fmamk_f16 v112, v34, 0xb3a8, v115
	v_mul_f16_e32 v116, 0x3b15, v80
	v_add_f16_e32 v109, v113, v109
	v_fmac_f16_e32 v115, 0x33a8, v34
	v_add_f16_e32 v82, v82, v87
	v_mul_f16_e32 v87, 0xb9fd, v36
	v_add_f16_e32 v19, v19, v45
	v_sub_f16_e32 v22, v89, v48
	v_pk_add_f16 v16, v16, v20
	v_add_f16_e32 v110, v112, v110
	v_fmamk_f16 v112, v33, 0xb770, v116
	v_mul_f16_e32 v117, 0xb5ac, v78
	v_add_f16_e32 v96, v115, v109
	v_fmac_f16_e32 v116, 0x3770, v33
	v_mul_f16_e32 v85, 0xb5ac, v85
	v_mul_f16_e32 v86, 0xbbc4, v44
	v_bfi_b32 v45, 0xffff, v66, v73
	v_add_f16_e32 v19, v22, v19
	v_sub_f16_e32 v22, v87, v47
	v_pk_add_f16 v16, v16, v21
	v_add_f16_e32 v110, v112, v110
	v_fmamk_f16 v112, v39, 0x3b7b, v117
	v_add_f16_e32 v96, v116, v96
	v_fmac_f16_e32 v117, 0xbb7b, v39
	v_mul_f16_e32 v83, 0xbbc4, v83
	v_add_f16_e32 v58, v58, v85
	v_bfi_b32 v48, 0xffff, v67, v74
	v_add_f16_e32 v19, v22, v19
	v_sub_f16_e32 v22, v86, v46
	v_mul_u32_u24_e32 v21, 48, v5
	v_pk_add_f16 v45, v95, v45
	v_pk_mul_f16 v43, 0xbbc4, v43 op_sel_hi:[0,1]
	v_pk_add_f16 v14, v16, v14
	v_add_f16_e32 v93, v117, v96
	v_fma_f16 v96, v36, 0xbbc4, -v105
	v_mul_f16_e32 v88, 0xbbc4, v42
	v_mul_f16_e32 v81, 0xb9fd, v81
	v_add_f16_e32 v57, v58, v57
	v_add_f16_e32 v56, v56, v83
	v_bfi_b32 v23, 0xffff, v65, v72
	v_add_f16_e32 v19, v22, v19
	v_add3_u32 v16, v32, v21, v25
	v_pk_add_f16 v21, v48, v45
	v_pk_fma_f16 v22, 0xb3a8, v41, v43 op_sel:[0,0,1] op_sel_hi:[0,1,0] neg_lo:[0,1,0] neg_hi:[0,1,0]
	v_pk_mul_f16 v32, 0x3b15, v42 op_sel_hi:[0,1]
	v_pk_add_f16 v14, v14, v15
	v_pk_fma_f16 v15, 0xb3a8, v41, v43 op_sel:[0,0,1] op_sel_hi:[0,1,0]
	v_add_f16_e32 v91, v96, v91
	v_mul_f16_e32 v96, 0xb5ac, v40
	v_sub_f16_e32 v76, v88, v76
	v_mul_f16_e32 v80, 0x2fb7, v80
	v_add_f16_e32 v56, v56, v57
	v_add_f16_e32 v53, v53, v81
	v_bfi_b32 v47, 0xffff, v63, v71
	v_pk_add_f16 v21, v23, v21
	v_pk_add_f16 v22, v95, v22
	v_pk_fma_f16 v23, 0x3770, v38, v32 op_sel:[0,0,1] op_sel_hi:[0,1,0] neg_lo:[0,1,0] neg_hi:[0,1,0]
	v_pk_mul_f16 v40, 0xb9fd, v40 op_sel_hi:[0,1]
	v_pk_add_f16 v15, v95, v15
	v_pk_fma_f16 v32, 0x3770, v38, v32 op_sel:[0,0,1] op_sel_hi:[0,1,0]
	v_mul_f16_e32 v88, 0x3b15, v37
	v_add_f16_e32 v76, v76, v77
	v_sub_f16_e32 v68, v96, v68
	v_mul_f16_e32 v96, 0x3b15, v78
	v_add_f16_e32 v17, v53, v56
	v_add_f16_e32 v52, v52, v80
	v_bfi_b32 v20, 0xffff, v62, v69
	v_pk_add_f16 v21, v47, v21
	v_pk_add_f16 v22, v23, v22
	v_pk_fma_f16 v23, 0xb94e, v35, v40 op_sel:[0,0,1] op_sel_hi:[0,1,0] neg_lo:[0,1,0] neg_hi:[0,1,0]
	v_pk_mul_f16 v37, 0x388b, v37 op_sel_hi:[0,1]
	v_pk_add_f16 v15, v32, v15
	v_pk_fma_f16 v32, 0xb94e, v35, v40 op_sel:[0,0,1] op_sel_hi:[0,1,0]
	v_mul_f16_e32 v77, 0x388b, v36
	v_add_f16_e32 v68, v68, v76
	v_sub_f16_e32 v61, v88, v61
	v_add_f16_e32 v17, v52, v17
	v_add_f16_e32 v51, v54, v96
	v_bfi_b32 v50, 0xffff, v64, v70
	v_pk_add_f16 v20, v20, v21
	v_pk_add_f16 v21, v23, v22
	v_pk_fma_f16 v22, 0x3a95, v34, v37 op_sel:[0,0,1] op_sel_hi:[0,1,0] neg_lo:[0,1,0] neg_hi:[0,1,0]
	v_pk_mul_f16 v23, 0xb5ac, v36 op_sel_hi:[0,1]
	v_pk_add_f16 v15, v32, v15
	v_pk_fma_f16 v32, 0x3a95, v34, v37 op_sel:[0,0,1] op_sel_hi:[0,1,0]
	v_mul_f16_e32 v85, 0xb9fd, v44
	v_mul_f16_e32 v78, 0xb9fd, v78
	v_add_f16_e32 v61, v61, v68
	v_sub_f16_e32 v60, v77, v60
	v_add_f16_e32 v17, v51, v17
	v_pk_add_f16 v20, v50, v20
	v_pk_add_f16 v21, v22, v21
	v_pk_fma_f16 v22, 0xbb7b, v33, v23 op_sel:[0,0,1] op_sel_hi:[0,1,0] neg_lo:[0,1,0] neg_hi:[0,1,0]
	v_pk_mul_f16 v34, 0x2fb7, v44 op_sel_hi:[0,1]
	v_pk_add_f16 v15, v32, v15
	v_pk_fma_f16 v23, 0xbb7b, v33, v23 op_sel:[0,0,1] op_sel_hi:[0,1,0]
	v_fma_f16 v97, v44, 0x388b, -v108
	v_add_f16_e32 v76, v82, v84
	v_add_f16_e32 v55, v55, v78
	;; [unrolled: 1-line block ×3, first 2 shown]
	v_sub_f16_e32 v18, v85, v59
	v_pk_add_f16 v12, v14, v12
	v_alignbit_b32 v14, v17, v20, 16
	v_pk_add_f16 v17, v22, v21
	v_pk_fma_f16 v21, 0x3bf1, v39, v34 op_sel:[0,0,1] op_sel_hi:[0,1,0] neg_lo:[0,1,0] neg_hi:[0,1,0]
	v_pk_add_f16 v15, v23, v15
	v_pk_fma_f16 v22, 0x3bf1, v39, v34 op_sel:[0,0,1] op_sel_hi:[0,1,0]
	v_add_f16_e32 v58, v97, v91
	v_add_f16_e32 v49, v55, v76
	;; [unrolled: 1-line block ×3, first 2 shown]
	v_pack_b32_f16 v19, v19, v20
	v_pk_add_f16 v17, v21, v17
	v_pk_add_f16 v15, v22, v15
	v_add_f16_e32 v110, v112, v110
	v_add_f16_e32 v101, v114, v101
	v_pack_b32_f16 v18, v18, v49
	v_pack_b32_f16 v20, v58, v79
	v_pk_add_f16 v12, v12, v13
	v_pack_b32_f16 v13, v75, v93
	ds_write2_b32 v16, v19, v14 offset0:1 offset1:2
	ds_write2_b32 v16, v18, v20 offset0:3 offset1:4
	v_alignbit_b32 v14, v17, v15, 16
	v_alignbit_b32 v15, v15, v17, 16
	v_pack_b32_f16 v17, v100, v98
	v_pack_b32_f16 v18, v101, v110
	v_perm_b32 v19, v26, v8, 0x5040100
	v_perm_b32 v20, v27, v11, 0x5040100
	;; [unrolled: 1-line block ×3, first 2 shown]
	ds_write2_b32 v16, v12, v13 offset1:5
	ds_write2_b32 v16, v15, v14 offset0:6 offset1:7
	ds_write2_b32 v16, v18, v17 offset0:8 offset1:9
	;; [unrolled: 1-line block ×3, first 2 shown]
	ds_write_b32 v16, v21 offset:48
.LBB0_21:
	s_or_b32 exec_lo, exec_lo, s1
	v_add_nc_u32_e32 v20, 0x5b, v5
	v_add_nc_u32_e32 v14, 0x16c, v5
	v_mov_b32_e32 v15, 0x4ec5
	v_add_nc_u32_e32 v13, 0x111, v5
	v_and_b32_e32 v16, 0xff, v5
	v_add_nc_u32_e32 v12, 0xb6, v5
	v_and_b32_e32 v17, 0xff, v20
	v_mul_u32_u24_sdwa v18, v14, v15 dst_sel:DWORD dst_unused:UNUSED_PAD src0_sel:WORD_0 src1_sel:DWORD
	v_mov_b32_e32 v32, 2
	v_mul_lo_u16 v34, 0x4f, v16
	v_mul_u32_u24_sdwa v16, v13, v15 dst_sel:DWORD dst_unused:UNUSED_PAD src0_sel:WORD_0 src1_sel:DWORD
	v_mul_u32_u24_sdwa v15, v12, v15 dst_sel:DWORD dst_unused:UNUSED_PAD src0_sel:WORD_0 src1_sel:DWORD
	v_mul_lo_u16 v22, 0x4f, v17
	v_lshrrev_b32_e32 v21, 18, v18
	v_lshrrev_b16 v17, 10, v34
	v_lshrrev_b32_e32 v23, 18, v16
	v_lshrrev_b32_e32 v33, 18, v15
	v_lshrrev_b16 v35, 10, v22
	v_mul_lo_u16 v15, v21, 13
	v_mul_lo_u16 v16, v17, 13
	;; [unrolled: 1-line block ×5, first 2 shown]
	v_sub_nc_u16 v14, v14, v15
	v_sub_nc_u16 v16, v5, v16
	v_sub_nc_u16 v13, v13, v18
	v_sub_nc_u16 v12, v12, v19
	v_sub_nc_u16 v15, v20, v36
	v_lshlrev_b32_sdwa v36, v32, v14 dst_sel:DWORD dst_unused:UNUSED_PAD src0_sel:DWORD src1_sel:WORD_0
	v_lshlrev_b32_sdwa v40, v32, v16 dst_sel:DWORD dst_unused:UNUSED_PAD src0_sel:DWORD src1_sel:BYTE_0
	v_lshlrev_b32_sdwa v37, v32, v13 dst_sel:DWORD dst_unused:UNUSED_PAD src0_sel:DWORD src1_sel:WORD_0
	v_lshlrev_b32_sdwa v38, v32, v12 dst_sel:DWORD dst_unused:UNUSED_PAD src0_sel:DWORD src1_sel:WORD_0
	v_lshlrev_b32_sdwa v39, v32, v15 dst_sel:DWORD dst_unused:UNUSED_PAD src0_sel:DWORD src1_sel:BYTE_0
	s_waitcnt lgkmcnt(0)
	s_barrier
	buffer_gl0_inv
	s_clause 0x4
	global_load_dword v41, v36, s[12:13]
	global_load_dword v42, v37, s[12:13]
	;; [unrolled: 1-line block ×5, first 2 shown]
	ds_read2_b32 v[12:13], v30 offset0:71 offset1:162
	ds_read_b32 v46, v24
	ds_read_b32 v47, v6 offset:3276
	ds_read2_b32 v[14:15], v10 offset0:125 offset1:216
	v_and_b32_e32 v35, 0xffff, v35
	v_and_b32_e32 v10, 0xffff, v17
	v_mad_u32_u24 v33, 0x68, v33, 0
	ds_read2_b32 v[16:17], v6 offset0:91 offset1:182
	ds_read2_b32 v[18:19], v31 offset0:17 offset1:108
	v_mad_u32_u24 v23, 0x68, v23, 0
	v_mad_u32_u24 v35, 0x68, v35, 0
	;; [unrolled: 1-line block ×4, first 2 shown]
	v_add3_u32 v33, v33, v38, v25
	v_add3_u32 v23, v23, v37, v25
	;; [unrolled: 1-line block ×5, first 2 shown]
	v_add_nc_u32_e32 v31, 0xa00, v6
	s_waitcnt vmcnt(0) lgkmcnt(0)
	s_barrier
	buffer_gl0_inv
	v_cmp_gt_u32_e64 s0, 39, v5
	v_pk_mul_f16 v10, v41, v47 op_sel:[0,1]
	v_pk_mul_f16 v36, v42, v15 op_sel:[0,1]
	;; [unrolled: 1-line block ×5, first 2 shown]
	v_pk_fma_f16 v48, v41, v47, v10 op_sel:[0,0,1] op_sel_hi:[1,1,0] neg_lo:[0,0,1] neg_hi:[0,0,1]
	v_pk_fma_f16 v49, v42, v15, v36 op_sel:[0,0,1] op_sel_hi:[1,1,0] neg_lo:[0,0,1] neg_hi:[0,0,1]
	;; [unrolled: 1-line block ×5, first 2 shown]
	v_pk_fma_f16 v12, v45, v12, v39 op_sel:[0,0,1] op_sel_hi:[1,0,0]
	v_pk_fma_f16 v13, v44, v13, v38 op_sel:[0,0,1] op_sel_hi:[1,0,0]
	;; [unrolled: 1-line block ×5, first 2 shown]
	v_bfi_b32 v12, 0xffff, v52, v12
	v_bfi_b32 v13, 0xffff, v51, v13
	;; [unrolled: 1-line block ×5, first 2 shown]
	v_pk_add_f16 v36, v46, v12 neg_lo:[0,1] neg_hi:[0,1]
	v_pk_add_f16 v37, v16, v13 neg_lo:[0,1] neg_hi:[0,1]
	;; [unrolled: 1-line block ×5, first 2 shown]
	v_pk_fma_f16 v15, v46, 2.0, v36 op_sel_hi:[1,0,1] neg_lo:[0,0,1] neg_hi:[0,0,1]
	v_pk_fma_f16 v16, v16, 2.0, v37 op_sel_hi:[1,0,1] neg_lo:[0,0,1] neg_hi:[0,0,1]
	v_pk_fma_f16 v17, v17, 2.0, v14 op_sel_hi:[1,0,1] neg_lo:[0,0,1] neg_hi:[0,0,1]
	v_pk_fma_f16 v18, v18, 2.0, v12 op_sel_hi:[1,0,1] neg_lo:[0,0,1] neg_hi:[0,0,1]
	v_pk_fma_f16 v13, v19, 2.0, v10 op_sel_hi:[1,0,1] neg_lo:[0,0,1] neg_hi:[0,0,1]
	ds_write2_b32 v40, v15, v36 offset1:13
	ds_write2_b32 v35, v16, v37 offset1:13
	;; [unrolled: 1-line block ×5, first 2 shown]
	s_waitcnt lgkmcnt(0)
	s_barrier
	buffer_gl0_inv
	ds_read_b32 v33, v24
	ds_read2_b32 v[18:19], v29 offset0:2 offset1:132
	ds_read2_b32 v[16:17], v30 offset0:6 offset1:136
	;; [unrolled: 1-line block ×3, first 2 shown]
	v_lshrrev_b32_e32 v29, 16, v13
	v_lshrrev_b32_e32 v23, 16, v10
	v_lshrrev_b32_e32 v21, 16, v12
                                        ; implicit-def: $vgpr30
                                        ; implicit-def: $vgpr31
	s_and_saveexec_b32 s1, s0
	s_cbranch_execz .LBB0_23
; %bb.22:
	v_add_nc_u32_e32 v8, 0x400, v6
	v_add_nc_u32_e32 v9, 0x800, v6
	ds_read2_b32 v[12:13], v6 offset0:91 offset1:221
	ds_read_b32 v31, v6 offset:3484
	ds_read2_b32 v[10:11], v8 offset0:95 offset1:225
	ds_read2_b32 v[8:9], v9 offset0:99 offset1:229
	ds_read_u16 v23, v6 offset:1406
	s_waitcnt lgkmcnt(4)
	v_lshrrev_b32_e32 v21, 16, v12
	s_waitcnt lgkmcnt(3)
	v_lshrrev_b32_e32 v30, 16, v31
	;; [unrolled: 2-line block ×4, first 2 shown]
	v_lshrrev_b32_e32 v28, 16, v9
	v_lshrrev_b32_e32 v29, 16, v13
.LBB0_23:
	s_or_b32 exec_lo, exec_lo, s1
	v_lshrrev_b16 v41, 11, v34
	v_mov_b32_e32 v34, 6
	s_waitcnt lgkmcnt(2)
	v_lshrrev_b32_e32 v43, 16, v18
	v_lshrrev_b32_e32 v44, 16, v19
	s_waitcnt lgkmcnt(0)
	v_lshrrev_b32_e32 v46, 16, v14
	v_mul_lo_u16 v35, v41, 26
	v_and_b32_e32 v41, 0xffff, v41
	v_lshrrev_b32_e32 v47, 16, v15
	v_lshrrev_b32_e32 v45, 16, v17
	v_sub_nc_u16 v42, v5, v35
	v_mad_u32_u24 v41, 0x2d8, v41, 0
	v_mul_u32_u24_sdwa v35, v42, v34 dst_sel:DWORD dst_unused:UNUSED_PAD src0_sel:BYTE_0 src1_sel:DWORD
	v_lshlrev_b32_sdwa v32, v32, v42 dst_sel:DWORD dst_unused:UNUSED_PAD src0_sel:DWORD src1_sel:BYTE_0
	v_lshrrev_b32_e32 v42, 16, v16
	v_lshlrev_b32_e32 v39, 2, v35
	v_add3_u32 v32, v41, v32, v25
	s_clause 0x1
	global_load_dwordx4 v[35:38], v39, s[12:13] offset:52
	global_load_dwordx2 v[39:40], v39, s[12:13] offset:68
	s_waitcnt vmcnt(0)
	s_barrier
	buffer_gl0_inv
	v_mul_f16_sdwa v41, v35, v43 dst_sel:DWORD dst_unused:UNUSED_PAD src0_sel:WORD_1 src1_sel:DWORD
	v_mul_f16_sdwa v48, v35, v18 dst_sel:DWORD dst_unused:UNUSED_PAD src0_sel:WORD_1 src1_sel:DWORD
	;; [unrolled: 1-line block ×12, first 2 shown]
	v_fma_f16 v18, v35, v18, -v41
	v_fmac_f16_e32 v48, v35, v43
	v_fma_f16 v19, v36, v19, -v49
	v_fmac_f16_e32 v50, v36, v44
	;; [unrolled: 2-line block ×6, first 2 shown]
	v_add_f16_e32 v35, v18, v15
	v_add_f16_e32 v36, v48, v58
	v_add_f16_e32 v37, v19, v14
	v_add_f16_e32 v38, v50, v56
	v_sub_f16_e32 v15, v18, v15
	v_sub_f16_e32 v18, v48, v58
	;; [unrolled: 1-line block ×4, first 2 shown]
	v_add_f16_e32 v39, v16, v17
	v_add_f16_e32 v40, v52, v54
	v_sub_f16_e32 v16, v17, v16
	v_sub_f16_e32 v17, v54, v52
	v_add_f16_e32 v41, v37, v35
	v_add_f16_e32 v42, v38, v36
	v_sub_f16_e32 v43, v37, v35
	v_sub_f16_e32 v44, v38, v36
	;; [unrolled: 1-line block ×6, first 2 shown]
	v_add_f16_e32 v45, v16, v14
	v_add_f16_e32 v46, v17, v19
	v_sub_f16_e32 v47, v16, v14
	v_sub_f16_e32 v48, v17, v19
	;; [unrolled: 1-line block ×4, first 2 shown]
	v_add_f16_e32 v39, v39, v41
	v_add_f16_e32 v40, v40, v42
	v_sub_f16_e32 v16, v15, v16
	v_sub_f16_e32 v17, v18, v17
	v_add_f16_e32 v15, v45, v15
	v_add_f16_e32 v18, v46, v18
	v_mul_f16_e32 v35, 0x3a52, v35
	v_mul_f16_e32 v36, 0x3a52, v36
	;; [unrolled: 1-line block ×8, first 2 shown]
	v_add_f16_e32 v49, v39, v33
	v_add_f16_sdwa v33, v40, v33 dst_sel:DWORD dst_unused:UNUSED_PAD src0_sel:DWORD src1_sel:WORD_1
	v_fmamk_f16 v37, v37, 0x2b26, v35
	v_fmamk_f16 v38, v38, 0x2b26, v36
	v_fma_f16 v41, v43, 0x39e0, -v41
	v_fma_f16 v42, v44, 0x39e0, -v42
	v_fma_f16 v35, v43, 0xb9e0, -v35
	v_fma_f16 v36, v44, 0xb9e0, -v36
	v_fmamk_f16 v43, v16, 0x3574, v45
	v_fmamk_f16 v44, v17, 0x3574, v46
	v_fma_f16 v14, v14, 0x3b00, -v45
	v_fma_f16 v19, v19, 0x3b00, -v46
	;; [unrolled: 1-line block ×4, first 2 shown]
	v_fmamk_f16 v39, v39, 0xbcab, v49
	v_fmamk_f16 v40, v40, 0xbcab, v33
	v_fmac_f16_e32 v43, 0x370e, v15
	v_fmac_f16_e32 v44, 0x370e, v18
	;; [unrolled: 1-line block ×6, first 2 shown]
	v_pack_b32_f16 v15, v49, v33
	v_add_f16_e32 v18, v37, v39
	v_add_f16_e32 v33, v38, v40
	;; [unrolled: 1-line block ×7, first 2 shown]
	v_sub_f16_e32 v40, v33, v43
	v_add_f16_e32 v41, v17, v35
	v_sub_f16_e32 v42, v36, v16
	v_sub_f16_e32 v45, v37, v19
	v_add_f16_e32 v46, v14, v38
	v_add_f16_e32 v19, v19, v37
	v_sub_f16_e32 v14, v38, v14
	v_sub_f16_e32 v17, v35, v17
	v_add_f16_e32 v16, v16, v36
	v_sub_f16_e32 v18, v18, v44
	v_add_f16_e32 v33, v43, v33
	v_pack_b32_f16 v35, v39, v40
	v_pack_b32_f16 v36, v41, v42
	;; [unrolled: 1-line block ×6, first 2 shown]
	ds_write2_b32 v32, v15, v35 offset1:26
	ds_write2_b32 v32, v36, v37 offset0:52 offset1:78
	ds_write2_b32 v32, v14, v16 offset0:104 offset1:130
	ds_write_b32 v32, v17 offset:624
	s_and_saveexec_b32 s1, s0
	s_cbranch_execz .LBB0_25
; %bb.24:
	v_lshrrev_b16 v22, 11, v22
	v_mov_b32_e32 v33, 2
	v_mul_lo_u16 v14, v22, 26
	v_and_b32_e32 v22, 0xffff, v22
	v_sub_nc_u16 v32, v20, v14
	v_mad_u32_u24 v22, 0x2d8, v22, 0
	v_mul_u32_u24_sdwa v14, v32, v34 dst_sel:DWORD dst_unused:UNUSED_PAD src0_sel:BYTE_0 src1_sel:DWORD
	v_lshlrev_b32_sdwa v32, v33, v32 dst_sel:DWORD dst_unused:UNUSED_PAD src0_sel:DWORD src1_sel:BYTE_0
	v_lshlrev_b32_e32 v18, 2, v14
	v_add3_u32 v22, v22, v32, v25
	s_clause 0x1
	global_load_dwordx4 v[14:17], v18, s[12:13] offset:52
	global_load_dwordx2 v[18:19], v18, s[12:13] offset:68
	s_waitcnt vmcnt(1)
	v_mul_f16_sdwa v25, v29, v14 dst_sel:DWORD dst_unused:UNUSED_PAD src0_sel:DWORD src1_sel:WORD_1
	s_waitcnt vmcnt(0)
	v_mul_f16_sdwa v32, v30, v19 dst_sel:DWORD dst_unused:UNUSED_PAD src0_sel:DWORD src1_sel:WORD_1
	v_mul_f16_sdwa v35, v23, v15 dst_sel:DWORD dst_unused:UNUSED_PAD src0_sel:DWORD src1_sel:WORD_1
	v_mul_f16_sdwa v36, v28, v18 dst_sel:DWORD dst_unused:UNUSED_PAD src0_sel:DWORD src1_sel:WORD_1
	v_mul_f16_sdwa v37, v31, v19 dst_sel:DWORD dst_unused:UNUSED_PAD src0_sel:DWORD src1_sel:WORD_1
	v_mul_f16_sdwa v38, v13, v14 dst_sel:DWORD dst_unused:UNUSED_PAD src0_sel:DWORD src1_sel:WORD_1
	v_mul_f16_sdwa v41, v9, v18 dst_sel:DWORD dst_unused:UNUSED_PAD src0_sel:DWORD src1_sel:WORD_1
	v_mul_f16_sdwa v42, v10, v15 dst_sel:DWORD dst_unused:UNUSED_PAD src0_sel:DWORD src1_sel:WORD_1
	v_mul_f16_sdwa v33, v26, v17 dst_sel:DWORD dst_unused:UNUSED_PAD src0_sel:DWORD src1_sel:WORD_1
	v_mul_f16_sdwa v34, v27, v16 dst_sel:DWORD dst_unused:UNUSED_PAD src0_sel:DWORD src1_sel:WORD_1
	v_mul_f16_sdwa v39, v11, v16 dst_sel:DWORD dst_unused:UNUSED_PAD src0_sel:DWORD src1_sel:WORD_1
	v_mul_f16_sdwa v40, v8, v17 dst_sel:DWORD dst_unused:UNUSED_PAD src0_sel:DWORD src1_sel:WORD_1
	v_fma_f16 v13, v13, v14, -v25
	v_fma_f16 v25, v31, v19, -v32
	;; [unrolled: 1-line block ×4, first 2 shown]
	v_fmac_f16_e32 v37, v30, v19
	v_fmac_f16_e32 v38, v29, v14
	;; [unrolled: 1-line block ×4, first 2 shown]
	v_fma_f16 v8, v8, v17, -v33
	v_fma_f16 v11, v11, v16, -v34
	v_fmac_f16_e32 v39, v27, v16
	v_fmac_f16_e32 v40, v26, v17
	v_sub_f16_e32 v14, v13, v25
	v_sub_f16_e32 v16, v10, v9
	v_add_f16_e32 v17, v38, v37
	v_add_f16_e32 v19, v42, v41
	;; [unrolled: 1-line block ×4, first 2 shown]
	v_sub_f16_e32 v15, v8, v11
	v_add_f16_e32 v18, v39, v40
	v_add_f16_e32 v8, v11, v8
	v_sub_f16_e32 v10, v38, v37
	v_sub_f16_e32 v11, v40, v39
	;; [unrolled: 1-line block ×3, first 2 shown]
	v_add_f16_e32 v29, v19, v17
	v_add_f16_e32 v32, v9, v13
	v_sub_f16_e32 v25, v14, v15
	v_sub_f16_e32 v26, v15, v16
	v_add_f16_e32 v15, v15, v16
	v_sub_f16_e32 v27, v17, v18
	v_sub_f16_e32 v28, v18, v19
	v_sub_f16_e32 v30, v13, v8
	v_sub_f16_e32 v31, v8, v9
	v_sub_f16_e32 v33, v10, v11
	v_sub_f16_e32 v34, v11, v23
	v_add_f16_e32 v11, v11, v23
	v_sub_f16_e32 v16, v16, v14
	v_sub_f16_e32 v9, v9, v13
	;; [unrolled: 1-line block ×3, first 2 shown]
	v_add_f16_e32 v18, v18, v29
	v_add_f16_e32 v8, v8, v32
	v_sub_f16_e32 v17, v19, v17
	v_mul_f16_e32 v19, 0xb846, v26
	v_add_f16_e32 v14, v15, v14
	v_mul_f16_e32 v15, 0x3a52, v27
	v_mul_f16_e32 v26, 0x3a52, v30
	;; [unrolled: 1-line block ×3, first 2 shown]
	v_add_f16_e32 v10, v11, v10
	v_mul_f16_e32 v11, 0x3b00, v16
	v_mul_f16_e32 v30, 0x3b00, v13
	v_add_f16_e32 v21, v21, v18
	v_add_f16_e32 v12, v12, v8
	v_mul_f16_e32 v23, 0x2b26, v28
	v_mul_f16_e32 v27, 0x2b26, v31
	v_fmamk_f16 v32, v25, 0x3574, v19
	v_fmamk_f16 v28, v28, 0x2b26, v15
	;; [unrolled: 1-line block ×4, first 2 shown]
	v_fma_f16 v11, v25, 0xb574, -v11
	v_fma_f16 v25, v9, 0xb9e0, -v26
	;; [unrolled: 1-line block ×5, first 2 shown]
	v_fmamk_f16 v18, v18, 0xbcab, v21
	v_fmamk_f16 v8, v8, 0xbcab, v12
	v_fma_f16 v15, v17, 0xb9e0, -v15
	v_fma_f16 v17, v17, 0x39e0, -v23
	;; [unrolled: 1-line block ×3, first 2 shown]
	v_fmac_f16_e32 v32, 0x370e, v14
	v_fmac_f16_e32 v34, 0x370e, v10
	;; [unrolled: 1-line block ×6, first 2 shown]
	v_pack_b32_f16 v10, v12, v21
	v_add_f16_e32 v12, v28, v18
	v_add_f16_e32 v14, v31, v8
	;; [unrolled: 1-line block ×7, first 2 shown]
	v_sub_f16_e32 v18, v14, v34
	v_sub_f16_e32 v12, v12, v32
	v_add_f16_e32 v14, v34, v14
	v_add_f16_e32 v21, v11, v15
	v_sub_f16_e32 v23, v17, v16
	v_add_f16_e32 v16, v16, v17
	v_sub_f16_e32 v11, v15, v11
	;; [unrolled: 2-line block ×4, first 2 shown]
	v_pack_b32_f16 v12, v14, v12
	v_pack_b32_f16 v11, v15, v11
	;; [unrolled: 1-line block ×6, first 2 shown]
	ds_write2_b32 v22, v10, v12 offset1:26
	ds_write2_b32 v22, v11, v14 offset0:52 offset1:78
	ds_write2_b32 v22, v8, v13 offset0:104 offset1:130
	ds_write_b32 v22, v9 offset:624
.LBB0_25:
	s_or_b32 exec_lo, exec_lo, s1
	v_mov_b32_e32 v8, 0
	s_waitcnt lgkmcnt(0)
	s_barrier
	buffer_gl0_inv
	v_add_nc_u32_e32 v19, 0x600, v6
	v_lshlrev_b64 v[9:10], 2, v[7:8]
	v_lshlrev_b32_e32 v7, 2, v20
	v_add_nc_u32_e32 v26, 0x800, v6
	v_add_nc_u32_e32 v27, 0x400, v6
	;; [unrolled: 1-line block ×4, first 2 shown]
	v_lshlrev_b64 v[13:14], 2, v[7:8]
	v_add_co_u32 v9, s0, s12, v9
	v_add_co_ci_u32_e64 v10, s0, s13, v10, s0
	v_add_co_u32 v13, s0, s12, v13
	global_load_dwordx4 v[9:12], v[9:10], off offset:676
	v_add_co_ci_u32_e64 v14, s0, s13, v14, s0
	global_load_dwordx4 v[13:16], v[13:14], off offset:676
	ds_read2_b32 v[17:18], v6 offset0:91 offset1:182
	ds_read_b32 v7, v24
	ds_read_b32 v25, v6 offset:3276
	ds_read2_b32 v[19:20], v19 offset0:71 offset1:162
	ds_read2_b32 v[21:22], v26 offset0:125 offset1:216
	;; [unrolled: 1-line block ×3, first 2 shown]
	s_waitcnt vmcnt(0) lgkmcnt(0)
	s_barrier
	buffer_gl0_inv
	v_lshrrev_b32_e32 v33, 16, v18
	v_lshrrev_b32_e32 v37, 16, v20
	;; [unrolled: 1-line block ×10, first 2 shown]
	v_mul_f16_sdwa v40, v9, v33 dst_sel:DWORD dst_unused:UNUSED_PAD src0_sel:WORD_1 src1_sel:DWORD
	v_mul_f16_sdwa v41, v9, v18 dst_sel:DWORD dst_unused:UNUSED_PAD src0_sel:WORD_1 src1_sel:DWORD
	;; [unrolled: 1-line block ×8, first 2 shown]
	v_fma_f16 v18, v9, v18, -v40
	v_fmac_f16_e32 v41, v9, v33
	v_fma_f16 v9, v10, v24, -v42
	v_fmac_f16_e32 v43, v10, v36
	;; [unrolled: 2-line block ×4, first 2 shown]
	v_mul_f16_sdwa v12, v13, v39 dst_sel:DWORD dst_unused:UNUSED_PAD src0_sel:WORD_1 src1_sel:DWORD
	v_mul_f16_sdwa v20, v13, v23 dst_sel:DWORD dst_unused:UNUSED_PAD src0_sel:WORD_1 src1_sel:DWORD
	v_mul_f16_sdwa v22, v34, v14 dst_sel:DWORD dst_unused:UNUSED_PAD src0_sel:DWORD src1_sel:WORD_1
	v_mul_f16_sdwa v24, v19, v14 dst_sel:DWORD dst_unused:UNUSED_PAD src0_sel:DWORD src1_sel:WORD_1
	v_mul_f16_sdwa v33, v35, v15 dst_sel:DWORD dst_unused:UNUSED_PAD src0_sel:DWORD src1_sel:WORD_1
	v_mul_f16_sdwa v36, v21, v15 dst_sel:DWORD dst_unused:UNUSED_PAD src0_sel:DWORD src1_sel:WORD_1
	v_mul_f16_sdwa v37, v32, v16 dst_sel:DWORD dst_unused:UNUSED_PAD src0_sel:DWORD src1_sel:WORD_1
	v_mul_f16_sdwa v38, v25, v16 dst_sel:DWORD dst_unused:UNUSED_PAD src0_sel:DWORD src1_sel:WORD_1
	v_fma_f16 v12, v13, v23, -v12
	v_fmac_f16_e32 v20, v13, v39
	v_fma_f16 v13, v19, v14, -v22
	v_fmac_f16_e32 v24, v34, v14
	;; [unrolled: 2-line block ×4, first 2 shown]
	v_add_f16_e32 v16, v7, v18
	v_add_f16_e32 v19, v9, v10
	v_sub_f16_e32 v23, v18, v9
	v_sub_f16_e32 v25, v11, v10
	v_add_f16_e32 v32, v18, v11
	v_sub_f16_e32 v33, v9, v18
	v_sub_f16_e32 v34, v10, v11
	v_add_f16_e32 v35, v30, v41
	v_add_f16_e32 v37, v43, v45
	v_sub_f16_e32 v40, v41, v43
	v_sub_f16_e32 v42, v47, v45
	v_add_f16_e32 v44, v41, v47
	v_sub_f16_e32 v21, v41, v47
	v_sub_f16_e32 v22, v43, v45
	;; [unrolled: 1-line block ×5, first 2 shown]
	v_add_f16_e32 v9, v16, v9
	v_fma_f16 v16, -0.5, v19, v7
	v_add_f16_e32 v19, v23, v25
	v_fmac_f16_e32 v7, -0.5, v32
	v_add_f16_e32 v23, v33, v34
	v_add_f16_e32 v25, v35, v43
	v_fma_f16 v32, -0.5, v37, v30
	v_add_f16_e32 v33, v40, v42
	v_fmac_f16_e32 v30, -0.5, v44
	v_add_f16_e32 v35, v17, v12
	v_add_f16_e32 v37, v13, v14
	v_sub_f16_e32 v42, v12, v13
	v_sub_f16_e32 v43, v15, v14
	v_add_f16_e32 v44, v12, v15
	v_add_f16_e32 v49, v31, v20
	;; [unrolled: 1-line block ×4, first 2 shown]
	v_sub_f16_e32 v18, v18, v11
	v_add_f16_e32 v34, v41, v46
	v_sub_f16_e32 v40, v20, v38
	v_sub_f16_e32 v41, v24, v36
	;; [unrolled: 1-line block ×7, first 2 shown]
	v_add_f16_e32 v9, v9, v10
	v_fmamk_f16 v10, v21, 0x3b9c, v16
	v_fmac_f16_e32 v16, 0xbb9c, v21
	v_fmamk_f16 v56, v22, 0xbb9c, v7
	v_fmac_f16_e32 v7, 0x3b9c, v22
	v_fmamk_f16 v57, v39, 0x3b9c, v30
	v_fmac_f16_e32 v30, 0xbb9c, v39
	v_add_f16_e32 v13, v35, v13
	v_fma_f16 v35, -0.5, v37, v17
	v_add_f16_e32 v37, v42, v43
	v_fmac_f16_e32 v17, -0.5, v44
	v_add_f16_e32 v24, v49, v24
	v_fma_f16 v43, -0.5, v50, v31
	v_fmac_f16_e32 v31, -0.5, v54
	v_add_f16_e32 v25, v25, v45
	v_fmamk_f16 v45, v18, 0xbb9c, v32
	v_fmac_f16_e32 v32, 0x3b9c, v18
	v_sub_f16_e32 v48, v14, v15
	v_sub_f16_e32 v53, v38, v36
	;; [unrolled: 1-line block ×3, first 2 shown]
	v_fmac_f16_e32 v10, 0x38b4, v22
	v_fmac_f16_e32 v16, 0xb8b4, v22
	;; [unrolled: 1-line block ×6, first 2 shown]
	v_add_f16_e32 v13, v13, v14
	v_fmamk_f16 v14, v40, 0x3b9c, v35
	v_fmamk_f16 v18, v41, 0xbb9c, v17
	v_add_f16_e32 v21, v24, v36
	v_fmamk_f16 v22, v12, 0xbb9c, v43
	v_fmamk_f16 v24, v51, 0x3b9c, v31
	v_fmac_f16_e32 v35, 0xbb9c, v40
	v_fmac_f16_e32 v17, 0x3b9c, v41
	;; [unrolled: 1-line block ×6, first 2 shown]
	v_add_f16_e32 v42, v46, v48
	v_add_f16_e32 v44, v52, v53
	;; [unrolled: 1-line block ×3, first 2 shown]
	v_fmac_f16_e32 v14, 0x38b4, v41
	v_fmac_f16_e32 v18, 0x38b4, v40
	;; [unrolled: 1-line block ×8, first 2 shown]
	v_add_f16_e32 v9, v9, v11
	v_add_f16_e32 v11, v25, v47
	v_fmac_f16_e32 v10, 0x34f2, v19
	v_fmac_f16_e32 v56, 0x34f2, v23
	;; [unrolled: 1-line block ×8, first 2 shown]
	v_add_f16_e32 v13, v13, v15
	v_add_f16_e32 v15, v21, v38
	v_fmac_f16_e32 v14, 0x34f2, v37
	v_fmac_f16_e32 v18, 0x34f2, v42
	;; [unrolled: 1-line block ×8, first 2 shown]
	v_pack_b32_f16 v9, v9, v11
	v_pack_b32_f16 v10, v10, v45
	;; [unrolled: 1-line block ×10, first 2 shown]
	ds_write2_b32 v28, v10, v11 offset0:54 offset1:236
	ds_write2_b32 v26, v7, v12 offset0:34 offset1:216
	ds_write2_b32 v6, v9, v13 offset1:91
	ds_write2_b32 v27, v14, v15 offset0:17 offset1:199
	ds_write2_b32 v29, v16, v17 offset0:61 offset1:243
	s_waitcnt lgkmcnt(0)
	s_barrier
	buffer_gl0_inv
	s_and_saveexec_b32 s0, vcc_lo
	s_cbranch_execz .LBB0_27
; %bb.26:
	v_mul_lo_u32 v6, s3, v3
	v_mul_lo_u32 v7, s2, v4
	v_mad_u64_u32 v[3:4], null, s2, v3, 0
	v_lshl_add_u32 v17, v5, 2, v0
	v_lshlrev_b64 v[0:1], 2, v[1:2]
	ds_read2_b32 v[9:10], v17 offset1:91
	v_add3_u32 v4, v4, v7, v6
	v_mov_b32_e32 v6, v8
	v_add_nc_u32_e32 v7, 0x5b, v5
	v_lshlrev_b64 v[3:4], 2, v[3:4]
	v_lshlrev_b64 v[11:12], 2, v[5:6]
	;; [unrolled: 1-line block ×3, first 2 shown]
	v_add_nc_u32_e32 v7, 0xb6, v5
	v_add_nc_u32_e32 v6, 0x400, v17
	v_add_co_u32 v2, vcc_lo, s10, v3
	v_add_co_ci_u32_e32 v3, vcc_lo, s11, v4, vcc_lo
	v_add_nc_u32_e32 v4, 0x200, v17
	v_add_co_u32 v19, vcc_lo, v2, v0
	v_add_co_ci_u32_e32 v20, vcc_lo, v3, v1, vcc_lo
	v_add_co_u32 v0, vcc_lo, v19, v11
	v_add_co_ci_u32_e32 v1, vcc_lo, v20, v12, vcc_lo
	;; [unrolled: 2-line block ×3, first 2 shown]
	v_lshlrev_b64 v[11:12], 2, v[7:8]
	v_add_nc_u32_e32 v7, 0x111, v5
	s_waitcnt lgkmcnt(0)
	global_store_dword v[0:1], v9, off
	global_store_dword v[2:3], v10, off
	ds_read2_b32 v[0:1], v4 offset0:54 offset1:145
	ds_read2_b32 v[9:10], v6 offset0:108 offset1:199
	v_add_nc_u32_e32 v4, 0x800, v17
	v_lshlrev_b64 v[2:3], 2, v[7:8]
	v_add_nc_u32_e32 v7, 0x16c, v5
	v_add_co_u32 v11, vcc_lo, v19, v11
	v_add_co_ci_u32_e32 v12, vcc_lo, v20, v12, vcc_lo
	v_lshlrev_b64 v[13:14], 2, v[7:8]
	v_add_nc_u32_e32 v7, 0x1c7, v5
	v_add_co_u32 v2, vcc_lo, v19, v2
	v_add_co_ci_u32_e32 v3, vcc_lo, v20, v3, vcc_lo
	v_add_co_u32 v13, vcc_lo, v19, v13
	v_lshlrev_b64 v[15:16], 2, v[7:8]
	v_add_nc_u32_e32 v7, 0x222, v5
	v_add_co_ci_u32_e32 v14, vcc_lo, v20, v14, vcc_lo
	s_waitcnt lgkmcnt(1)
	global_store_dword v[11:12], v0, off
	global_store_dword v[2:3], v1, off
	s_waitcnt lgkmcnt(0)
	global_store_dword v[13:14], v9, off
	v_lshlrev_b64 v[0:1], 2, v[7:8]
	v_add_nc_u32_e32 v7, 0x27d, v5
	v_add_nc_u32_e32 v6, 0xa00, v17
	v_add_co_u32 v2, vcc_lo, v19, v15
	ds_read2_b32 v[11:12], v4 offset0:34 offset1:125
	v_lshlrev_b64 v[13:14], 2, v[7:8]
	v_add_nc_u32_e32 v7, 0x2d8, v5
	v_add_co_ci_u32_e32 v3, vcc_lo, v20, v16, vcc_lo
	ds_read2_b32 v[15:16], v6 offset0:88 offset1:179
	v_add_co_u32 v0, vcc_lo, v19, v0
	v_lshlrev_b64 v[17:18], 2, v[7:8]
	v_add_nc_u32_e32 v7, 0x333, v5
	v_add_co_ci_u32_e32 v1, vcc_lo, v20, v1, vcc_lo
	v_add_co_u32 v4, vcc_lo, v19, v13
	v_lshlrev_b64 v[6:7], 2, v[7:8]
	v_add_co_ci_u32_e32 v5, vcc_lo, v20, v14, vcc_lo
	v_add_co_u32 v8, vcc_lo, v19, v17
	v_add_co_ci_u32_e32 v9, vcc_lo, v20, v18, vcc_lo
	v_add_co_u32 v6, vcc_lo, v19, v6
	v_add_co_ci_u32_e32 v7, vcc_lo, v20, v7, vcc_lo
	global_store_dword v[2:3], v10, off
	s_waitcnt lgkmcnt(1)
	global_store_dword v[0:1], v11, off
	global_store_dword v[4:5], v12, off
	s_waitcnt lgkmcnt(0)
	global_store_dword v[8:9], v15, off
	global_store_dword v[6:7], v16, off
.LBB0_27:
	s_endpgm
	.section	.rodata,"a",@progbits
	.p2align	6, 0x0
	.amdhsa_kernel fft_rtc_fwd_len910_factors_13_2_7_5_wgs_182_tpt_91_half_op_CI_CI_unitstride_sbrr_C2R_dirReg
		.amdhsa_group_segment_fixed_size 0
		.amdhsa_private_segment_fixed_size 0
		.amdhsa_kernarg_size 104
		.amdhsa_user_sgpr_count 6
		.amdhsa_user_sgpr_private_segment_buffer 1
		.amdhsa_user_sgpr_dispatch_ptr 0
		.amdhsa_user_sgpr_queue_ptr 0
		.amdhsa_user_sgpr_kernarg_segment_ptr 1
		.amdhsa_user_sgpr_dispatch_id 0
		.amdhsa_user_sgpr_flat_scratch_init 0
		.amdhsa_user_sgpr_private_segment_size 0
		.amdhsa_wavefront_size32 1
		.amdhsa_uses_dynamic_stack 0
		.amdhsa_system_sgpr_private_segment_wavefront_offset 0
		.amdhsa_system_sgpr_workgroup_id_x 1
		.amdhsa_system_sgpr_workgroup_id_y 0
		.amdhsa_system_sgpr_workgroup_id_z 0
		.amdhsa_system_sgpr_workgroup_info 0
		.amdhsa_system_vgpr_workitem_id 0
		.amdhsa_next_free_vgpr 118
		.amdhsa_next_free_sgpr 27
		.amdhsa_reserve_vcc 1
		.amdhsa_reserve_flat_scratch 0
		.amdhsa_float_round_mode_32 0
		.amdhsa_float_round_mode_16_64 0
		.amdhsa_float_denorm_mode_32 3
		.amdhsa_float_denorm_mode_16_64 3
		.amdhsa_dx10_clamp 1
		.amdhsa_ieee_mode 1
		.amdhsa_fp16_overflow 0
		.amdhsa_workgroup_processor_mode 1
		.amdhsa_memory_ordered 1
		.amdhsa_forward_progress 0
		.amdhsa_shared_vgpr_count 0
		.amdhsa_exception_fp_ieee_invalid_op 0
		.amdhsa_exception_fp_denorm_src 0
		.amdhsa_exception_fp_ieee_div_zero 0
		.amdhsa_exception_fp_ieee_overflow 0
		.amdhsa_exception_fp_ieee_underflow 0
		.amdhsa_exception_fp_ieee_inexact 0
		.amdhsa_exception_int_div_zero 0
	.end_amdhsa_kernel
	.text
.Lfunc_end0:
	.size	fft_rtc_fwd_len910_factors_13_2_7_5_wgs_182_tpt_91_half_op_CI_CI_unitstride_sbrr_C2R_dirReg, .Lfunc_end0-fft_rtc_fwd_len910_factors_13_2_7_5_wgs_182_tpt_91_half_op_CI_CI_unitstride_sbrr_C2R_dirReg
                                        ; -- End function
	.section	.AMDGPU.csdata,"",@progbits
; Kernel info:
; codeLenInByte = 10192
; NumSgprs: 29
; NumVgprs: 118
; ScratchSize: 0
; MemoryBound: 0
; FloatMode: 240
; IeeeMode: 1
; LDSByteSize: 0 bytes/workgroup (compile time only)
; SGPRBlocks: 3
; VGPRBlocks: 14
; NumSGPRsForWavesPerEU: 29
; NumVGPRsForWavesPerEU: 118
; Occupancy: 8
; WaveLimiterHint : 1
; COMPUTE_PGM_RSRC2:SCRATCH_EN: 0
; COMPUTE_PGM_RSRC2:USER_SGPR: 6
; COMPUTE_PGM_RSRC2:TRAP_HANDLER: 0
; COMPUTE_PGM_RSRC2:TGID_X_EN: 1
; COMPUTE_PGM_RSRC2:TGID_Y_EN: 0
; COMPUTE_PGM_RSRC2:TGID_Z_EN: 0
; COMPUTE_PGM_RSRC2:TIDIG_COMP_CNT: 0
	.text
	.p2alignl 6, 3214868480
	.fill 48, 4, 3214868480
	.type	__hip_cuid_e14a58f5eb161c96,@object ; @__hip_cuid_e14a58f5eb161c96
	.section	.bss,"aw",@nobits
	.globl	__hip_cuid_e14a58f5eb161c96
__hip_cuid_e14a58f5eb161c96:
	.byte	0                               ; 0x0
	.size	__hip_cuid_e14a58f5eb161c96, 1

	.ident	"AMD clang version 19.0.0git (https://github.com/RadeonOpenCompute/llvm-project roc-6.4.0 25133 c7fe45cf4b819c5991fe208aaa96edf142730f1d)"
	.section	".note.GNU-stack","",@progbits
	.addrsig
	.addrsig_sym __hip_cuid_e14a58f5eb161c96
	.amdgpu_metadata
---
amdhsa.kernels:
  - .args:
      - .actual_access:  read_only
        .address_space:  global
        .offset:         0
        .size:           8
        .value_kind:     global_buffer
      - .offset:         8
        .size:           8
        .value_kind:     by_value
      - .actual_access:  read_only
        .address_space:  global
        .offset:         16
        .size:           8
        .value_kind:     global_buffer
      - .actual_access:  read_only
        .address_space:  global
        .offset:         24
        .size:           8
        .value_kind:     global_buffer
      - .actual_access:  read_only
        .address_space:  global
        .offset:         32
        .size:           8
        .value_kind:     global_buffer
      - .offset:         40
        .size:           8
        .value_kind:     by_value
      - .actual_access:  read_only
        .address_space:  global
        .offset:         48
        .size:           8
        .value_kind:     global_buffer
      - .actual_access:  read_only
        .address_space:  global
        .offset:         56
        .size:           8
        .value_kind:     global_buffer
      - .offset:         64
        .size:           4
        .value_kind:     by_value
      - .actual_access:  read_only
        .address_space:  global
        .offset:         72
        .size:           8
        .value_kind:     global_buffer
      - .actual_access:  read_only
        .address_space:  global
        .offset:         80
        .size:           8
        .value_kind:     global_buffer
      - .actual_access:  read_only
        .address_space:  global
        .offset:         88
        .size:           8
        .value_kind:     global_buffer
      - .actual_access:  write_only
        .address_space:  global
        .offset:         96
        .size:           8
        .value_kind:     global_buffer
    .group_segment_fixed_size: 0
    .kernarg_segment_align: 8
    .kernarg_segment_size: 104
    .language:       OpenCL C
    .language_version:
      - 2
      - 0
    .max_flat_workgroup_size: 182
    .name:           fft_rtc_fwd_len910_factors_13_2_7_5_wgs_182_tpt_91_half_op_CI_CI_unitstride_sbrr_C2R_dirReg
    .private_segment_fixed_size: 0
    .sgpr_count:     29
    .sgpr_spill_count: 0
    .symbol:         fft_rtc_fwd_len910_factors_13_2_7_5_wgs_182_tpt_91_half_op_CI_CI_unitstride_sbrr_C2R_dirReg.kd
    .uniform_work_group_size: 1
    .uses_dynamic_stack: false
    .vgpr_count:     118
    .vgpr_spill_count: 0
    .wavefront_size: 32
    .workgroup_processor_mode: 1
amdhsa.target:   amdgcn-amd-amdhsa--gfx1030
amdhsa.version:
  - 1
  - 2
...

	.end_amdgpu_metadata
